;; amdgpu-corpus repo=ANL-CESAR/XSBench kind=compiled arch=gfx906 opt=O3
	.amdgcn_target "amdgcn-amd-amdhsa--gfx906"
	.amdhsa_code_object_version 6
	.text
	.protected	_Z25xs_lookup_kernel_baseline6Inputs14SimulationData ; -- Begin function _Z25xs_lookup_kernel_baseline6Inputs14SimulationData
	.globl	_Z25xs_lookup_kernel_baseline6Inputs14SimulationData
	.p2align	8
	.type	_Z25xs_lookup_kernel_baseline6Inputs14SimulationData,@function
_Z25xs_lookup_kernel_baseline6Inputs14SimulationData: ; @_Z25xs_lookup_kernel_baseline6Inputs14SimulationData
; %bb.0:
	s_load_dword s0, s[4:5], 0xcc
	s_load_dword s1, s[4:5], 0x18
	s_waitcnt lgkmcnt(0)
	s_and_b32 s0, s0, 0xffff
	s_mul_i32 s6, s6, s0
	v_add_u32_e32 v0, s6, v0
	v_cmp_gt_i32_e32 vcc, s1, v0
	s_and_saveexec_b64 s[0:1], vcc
	s_cbranch_execz .LBB0_76
; %bb.1:
	s_load_dwordx2 s[20:21], s[4:5], 0x28
	s_load_dwordx8 s[8:15], s[4:5], 0x40
	s_load_dwordx4 s[0:3], s[4:5], 0x60
	s_load_dwordx2 s[6:7], s[4:5], 0x90
	v_cmp_ne_u32_e32 vcc, 0, v0
	v_mov_b32_e32 v1, 0x4a2bcaa7
	v_mov_b32_e32 v4, 0x45df23cb
	s_and_saveexec_b64 s[16:17], vcc
	s_cbranch_execz .LBB0_7
; %bb.2:
	v_lshlrev_b32_e32 v3, 1, v0
	v_ashrrev_i32_e32 v1, 31, v3
	v_and_b32_e32 v4, 0x7fffffff, v1
	v_mov_b32_e32 v1, 1
	v_mov_b32_e32 v5, 0
	;; [unrolled: 1-line block ×3, first 2 shown]
	s_mov_b64 s[18:19], 0
	s_mov_b32 s27, 0x26f19d38
	s_mov_b32 s26, 0xe48e2825
	v_mov_b32_e32 v6, 0
	s_mov_b64 s[22:23], 1
	s_branch .LBB0_4
.LBB0_3:                                ;   in Loop: Header=BB0_4 Depth=1
	s_or_b64 exec, exec, s[24:25]
	s_add_u32 s24, s26, 1
	s_addc_u32 s25, s27, 0
	s_mul_i32 s23, s24, s23
	s_mul_hi_u32 s28, s24, s22
	s_add_i32 s23, s28, s23
	s_mul_i32 s25, s25, s22
	s_add_i32 s23, s23, s25
	s_mul_i32 s22, s24, s22
	s_mul_i32 s24, s26, s27
	s_mul_hi_u32 s25, s26, s26
	s_add_i32 s25, s25, s24
	v_cmp_gt_u64_e32 vcc, 2, v[3:4]
	s_add_i32 s27, s25, s24
	v_lshrrev_b64 v[3:4], 1, v[3:4]
	s_mul_i32 s26, s26, s26
	s_or_b64 s[18:19], vcc, s[18:19]
	s_andn2_b64 exec, exec, s[18:19]
	s_cbranch_execz .LBB0_6
.LBB0_4:                                ; =>This Inner Loop Header: Depth=1
	v_and_b32_e32 v7, 1, v3
	v_cmp_eq_u32_e32 vcc, 1, v7
	s_and_saveexec_b64 s[24:25], vcc
	s_cbranch_execz .LBB0_3
; %bb.5:                                ;   in Loop: Header=BB0_4 Depth=1
	v_mov_b32_e32 v7, s22
	v_mov_b32_e32 v8, s23
	v_mad_u64_u32 v[7:8], s[28:29], s26, v5, v[7:8]
	v_mul_lo_u32 v6, s26, v6
	v_mul_lo_u32 v5, s27, v5
	;; [unrolled: 1-line block ×4, first 2 shown]
	v_mad_u64_u32 v[1:2], s[28:29], s26, v1, 0
	v_add3_u32 v8, v5, v8, v6
	v_mov_b32_e32 v5, v7
	v_add3_u32 v2, v2, v10, v9
	v_mov_b32_e32 v6, v8
	s_branch .LBB0_3
.LBB0_6:
	s_or_b64 exec, exec, s[18:19]
	s_movk_i32 s22, 0x42e
	v_mad_u64_u32 v[3:4], s[18:19], v1, s22, v[5:6]
	v_mov_b32_e32 v1, v4
	v_mad_u64_u32 v[1:2], s[18:19], v2, s22, v[1:2]
	s_mov_b32 s18, 0x26f19d38
	s_mov_b32 s19, 0xe48e2825
	v_mul_lo_u32 v4, v3, s18
	v_mul_lo_u32 v5, v1, s19
	v_mad_u64_u32 v[1:2], s[18:19], v3, s19, 1
	v_add3_u32 v2, v5, v2, v4
	v_and_b32_e32 v4, 0x7fffffff, v2
.LBB0_7:
	s_or_b64 exec, exec, s[16:17]
	s_mov_b32 s22, 0xe48e2825
	s_load_dwordx4 s[16:19], s[4:5], 0x8
	s_load_dword s33, s[4:5], 0x8c
	v_mad_u64_u32 v[2:3], s[4:5], v1, s22, 1
	s_mov_b32 s4, 0x26f19d38
	v_mul_lo_u32 v5, v1, s4
	v_mul_lo_u32 v6, v4, s22
	s_movk_i32 s4, 0xffc1
	v_mov_b32_e32 v15, 1
	v_add3_u32 v3, v6, v3, v5
	v_and_b32_e32 v3, 0x7fffffff, v3
	v_cvt_f64_u32_e32 v[5:6], v3
	v_cvt_f64_u32_e32 v[2:3], v2
	v_ldexp_f64 v[5:6], v[5:6], 32
	v_add_f64 v[2:3], v[5:6], v[2:3]
	v_ldexp_f64 v[2:3], v[2:3], s4
	s_mov_b32 s4, 0x76c8b439
	s_mov_b32 s5, 0x3faa9fbe
	v_cmp_ngt_f64_e32 vcc, s[4:5], v[2:3]
	s_and_saveexec_b64 s[4:5], vcc
	s_cbranch_execz .LBB0_29
; %bb.8:
	s_mov_b32 s22, 0x6872b021
	s_mov_b32 s23, 0x3fd4ed91
	v_cmp_ngt_f64_e32 vcc, s[22:23], v[2:3]
	v_mov_b32_e32 v15, 2
	s_and_saveexec_b64 s[22:23], vcc
	s_cbranch_execz .LBB0_28
; %bb.9:
	s_mov_b32 s24, 0x24dd2f1b
	s_mov_b32 s25, 0x3fdd8106
	v_cmp_ngt_f64_e32 vcc, s[24:25], v[2:3]
	v_mov_b32_e32 v15, 3
	s_and_saveexec_b64 s[24:25], vcc
	s_cbranch_execz .LBB0_27
; %bb.10:
	s_mov_b32 s26, 0x7ae147af
	s_mov_b32 s27, 0x3fe3ae14
	v_cmp_ngt_f64_e32 vcc, s[26:27], v[2:3]
	v_mov_b32_e32 v15, 4
	s_and_saveexec_b64 s[26:27], vcc
	s_cbranch_execz .LBB0_26
; %bb.11:
	s_mov_b32 s28, 0x353f7cee
	s_mov_b32 s29, 0x3fe5ba5e
	v_cmp_ngt_f64_e32 vcc, s[28:29], v[2:3]
	v_mov_b32_e32 v15, 5
	s_and_saveexec_b64 s[28:29], vcc
	s_cbranch_execz .LBB0_25
; %bb.12:
	s_mov_b32 s30, 0x3d70a3d8
	s_mov_b32 s31, 0x3fe7d70a
	v_cmp_ngt_f64_e32 vcc, s[30:31], v[2:3]
	v_mov_b32_e32 v15, 6
	s_and_saveexec_b64 s[30:31], vcc
	s_cbranch_execz .LBB0_24
; %bb.13:
	s_mov_b32 s34, 0x9999999a
	s_mov_b32 s35, 0x3fe99999
	v_cmp_ngt_f64_e32 vcc, s[34:35], v[2:3]
	v_mov_b32_e32 v15, 7
	s_and_saveexec_b64 s[34:35], vcc
	s_cbranch_execz .LBB0_23
; %bb.14:
	s_mov_b32 s36, 0xd0e56042
	s_mov_b32 s37, 0x3fe9db22
	v_cmp_ngt_f64_e32 vcc, s[36:37], v[2:3]
	v_mov_b32_e32 v15, 8
	s_and_saveexec_b64 s[36:37], vcc
	s_cbranch_execz .LBB0_22
; %bb.15:
	s_mov_b32 s38, 0x189374bd
	s_mov_b32 s39, 0x3fea5604
	v_cmp_ngt_f64_e32 vcc, s[38:39], v[2:3]
	v_mov_b32_e32 v15, 9
	s_and_saveexec_b64 s[38:39], vcc
	s_cbranch_execz .LBB0_21
; %bb.16:
	s_mov_b32 s40, 0xe560418a
	s_mov_b32 s41, 0x3feb22d0
	v_cmp_ngt_f64_e32 vcc, s[40:41], v[2:3]
	v_mov_b32_e32 v15, 10
	s_and_saveexec_b64 s[40:41], vcc
	s_cbranch_execz .LBB0_20
; %bb.17:
	s_mov_b32 s42, 0xdf3b645b
	s_mov_b32 s43, 0x3feb8d4f
	v_cmp_ngt_f64_e32 vcc, s[42:43], v[2:3]
	v_mov_b32_e32 v15, 11
	s_and_saveexec_b64 s[42:43], vcc
; %bb.18:
	v_mov_b32_e32 v15, 0
; %bb.19:
	s_or_b64 exec, exec, s[42:43]
.LBB0_20:
	s_or_b64 exec, exec, s[40:41]
.LBB0_21:
	s_or_b64 exec, exec, s[38:39]
.LBB0_22:
	s_or_b64 exec, exec, s[36:37]
.LBB0_23:
	s_or_b64 exec, exec, s[34:35]
.LBB0_24:
	s_or_b64 exec, exec, s[30:31]
.LBB0_25:
	s_or_b64 exec, exec, s[28:29]
.LBB0_26:
	s_or_b64 exec, exec, s[26:27]
.LBB0_27:
	s_or_b64 exec, exec, s[24:25]
.LBB0_28:
	s_or_b64 exec, exec, s[22:23]
.LBB0_29:
	s_or_b64 exec, exec, s[4:5]
	v_cvt_f64_u32_e32 v[2:3], v4
	v_cvt_f64_u32_e32 v[4:5], v1
	s_movk_i32 s4, 0xffc1
	s_waitcnt lgkmcnt(0)
	s_cmp_lt_i32 s20, 2
	v_ldexp_f64 v[2:3], v[2:3], 32
	v_add_f64 v[1:2], v[2:3], v[4:5]
	v_ldexp_f64 v[1:2], v[1:2], s4
	s_cbranch_scc1 .LBB0_33
; %bb.30:
	v_mov_b32_e32 v13, -1
	v_mov_b32_e32 v14, -1
	s_cmp_eq_u32 s20, 2
	s_cbranch_scc0 .LBB0_32
; %bb.31:
	v_cvt_f64_i32_e32 v[3:4], s21
	v_div_scale_f64 v[5:6], s[4:5], v[3:4], v[3:4], 1.0
	v_rcp_f64_e32 v[7:8], v[5:6]
	v_fma_f64 v[9:10], -v[5:6], v[7:8], 1.0
	v_fma_f64 v[7:8], v[7:8], v[9:10], v[7:8]
	v_div_scale_f64 v[9:10], vcc, 1.0, v[3:4], 1.0
	v_fma_f64 v[11:12], -v[5:6], v[7:8], 1.0
	v_fma_f64 v[7:8], v[7:8], v[11:12], v[7:8]
	v_mul_f64 v[11:12], v[9:10], v[7:8]
	v_fma_f64 v[5:6], -v[5:6], v[11:12], v[9:10]
	v_div_fmas_f64 v[5:6], v[5:6], v[7:8], v[11:12]
	v_div_fixup_f64 v[3:4], v[5:6], v[3:4], 1.0
	v_div_scale_f64 v[5:6], s[4:5], v[3:4], v[3:4], v[1:2]
	s_movk_i32 s4, 0xffe0
	v_rcp_f64_e32 v[7:8], v[5:6]
	v_fma_f64 v[9:10], -v[5:6], v[7:8], 1.0
	v_fma_f64 v[7:8], v[7:8], v[9:10], v[7:8]
	v_div_scale_f64 v[9:10], vcc, v[1:2], v[3:4], v[1:2]
	v_fma_f64 v[11:12], -v[5:6], v[7:8], 1.0
	v_fma_f64 v[7:8], v[7:8], v[11:12], v[7:8]
	v_mul_f64 v[11:12], v[9:10], v[7:8]
	v_fma_f64 v[5:6], -v[5:6], v[11:12], v[9:10]
	v_div_fmas_f64 v[5:6], v[5:6], v[7:8], v[11:12]
	v_div_fixup_f64 v[3:4], v[5:6], v[3:4], v[1:2]
	v_trunc_f64_e32 v[3:4], v[3:4]
	v_ldexp_f64 v[5:6], v[3:4], s4
	s_mov_b32 s4, 0
	s_mov_b32 s5, 0xc1f00000
	v_floor_f64_e32 v[5:6], v[5:6]
	v_fma_f64 v[3:4], v[5:6], s[4:5], v[3:4]
	v_cvt_i32_f64_e32 v14, v[5:6]
	v_cvt_u32_f64_e32 v13, v[3:4]
.LBB0_32:
	s_cbranch_execz .LBB0_34
	s_branch .LBB0_39
.LBB0_33:
                                        ; implicit-def: $vgpr13_vgpr14
.LBB0_34:
	v_mov_b32_e32 v13, -1
	v_mov_b32_e32 v14, -1
	s_cmp_lg_u32 s20, 0
	s_cbranch_scc1 .LBB0_39
; %bb.35:
	s_mul_i32 s4, s18, s17
	s_mul_hi_u32 s5, s18, s16
	s_add_i32 s4, s5, s4
	s_mul_i32 s5, s19, s16
	s_add_i32 s5, s4, s5
	s_mul_i32 s4, s18, s16
	v_cmp_lt_i64_e64 s[22:23], s[4:5], 3
	v_mov_b32_e32 v13, 0
	v_mov_b32_e32 v14, 0
	s_and_b64 vcc, exec, s[22:23]
	s_cbranch_vccnz .LBB0_39
; %bb.36:
	s_add_u32 s22, s4, -1
	s_addc_u32 s23, s5, -1
	v_mov_b32_e32 v5, s22
	v_mov_b32_e32 v13, 0
	;; [unrolled: 1-line block ×3, first 2 shown]
	s_mov_b64 s[4:5], 0
	v_mov_b32_e32 v6, s23
	v_mov_b32_e32 v14, 0
	;; [unrolled: 1-line block ×4, first 2 shown]
.LBB0_37:                               ; =>This Inner Loop Header: Depth=1
	v_lshrrev_b64 v[5:6], 1, v[5:6]
	v_add_co_u32_e32 v5, vcc, v5, v13
	v_addc_co_u32_e32 v6, vcc, v6, v14, vcc
	v_lshlrev_b64 v[8:9], 3, v[5:6]
	v_add_co_u32_e32 v8, vcc, s14, v8
	v_addc_co_u32_e32 v9, vcc, v7, v9, vcc
	global_load_dwordx2 v[8:9], v[8:9], off
	s_waitcnt vmcnt(0)
	v_cmp_gt_f64_e32 vcc, v[8:9], v[1:2]
	v_cndmask_b32_e32 v3, v3, v5, vcc
	v_cndmask_b32_e32 v13, v5, v13, vcc
	;; [unrolled: 1-line block ×4, first 2 shown]
	v_sub_co_u32_e32 v5, vcc, v3, v13
	v_subb_co_u32_e32 v6, vcc, v4, v14, vcc
	v_cmp_gt_i64_e32 vcc, 2, v[5:6]
	s_or_b64 s[4:5], vcc, s[4:5]
	s_andn2_b64 exec, exec, s[4:5]
	s_cbranch_execnz .LBB0_37
; %bb.38:
	s_or_b64 exec, exec, s[4:5]
.LBB0_39:
	v_lshlrev_b32_e32 v3, 2, v15
	global_load_dword v25, v3, s[8:9]
	v_mov_b32_e32 v3, 0
	v_mov_b32_e32 v5, 0
	;; [unrolled: 1-line block ×5, first 2 shown]
	s_mov_b32 s30, 0
	v_mov_b32_e32 v4, 0
	v_mov_b32_e32 v6, 0
	;; [unrolled: 1-line block ×5, first 2 shown]
	s_waitcnt vmcnt(0)
	v_cmp_lt_i32_e32 vcc, 0, v25
	s_and_saveexec_b64 s[4:5], vcc
	s_cbranch_execz .LBB0_75
; %bb.40:
	v_mul_lo_u32 v5, v14, s16
	v_mul_lo_u32 v6, v13, s17
	v_mad_u64_u32 v[3:4], s[8:9], v13, s16, 0
	s_add_u32 s8, s18, -1
	v_mul_lo_u32 v26, v15, s33
	v_add3_u32 v4, v4, v6, v5
	v_lshlrev_b64 v[3:4], 2, v[3:4]
	v_mov_b32_e32 v5, s1
	v_add_co_u32_e32 v27, vcc, s0, v3
	v_addc_co_u32_e32 v28, vcc, v5, v4, vcc
	s_addc_u32 s9, s19, -1
	s_add_i32 s0, s21, -1
	s_lshl_b64 s[16:17], s[16:17], 2
	s_ashr_i32 s1, s0, 31
	v_mov_b32_e32 v3, s17
	v_add_co_u32_e32 v29, vcc, s16, v27
	v_cmp_gt_i64_e64 s[14:15], s[18:19], 2
	v_cmp_ne_u64_e64 s[0:1], s[0:1], v[13:14]
	v_addc_co_u32_e32 v30, vcc, v28, v3, vcc
	v_mov_b32_e32 v3, 0
	v_mov_b32_e32 v5, 0
	;; [unrolled: 1-line block ×5, first 2 shown]
	s_add_i32 s21, s18, -1
	v_mov_b32_e32 v4, 0
	s_mov_b64 s[16:17], 0
	v_mov_b32_e32 v31, s13
	v_mov_b32_e32 v32, s11
	;; [unrolled: 1-line block ×6, first 2 shown]
	v_not_b32_e32 v33, 47
	s_branch .LBB0_42
.LBB0_41:                               ;   in Loop: Header=BB0_42 Depth=1
	global_load_dwordx4 v[19:22], v[17:18], off offset:48
	global_load_dwordx4 v[34:37], v[17:18], off
	global_load_dwordx4 v[38:41], v[17:18], off offset:16
	global_load_dwordx4 v[42:45], v[17:18], off offset:32
	s_add_i32 s30, s30, 1
	s_waitcnt vmcnt(3)
	v_add_f64 v[23:24], v[19:20], -v[1:2]
	s_waitcnt vmcnt(2)
	v_add_f64 v[19:20], v[19:20], -v[34:35]
	v_add_f64 v[36:37], v[21:22], -v[36:37]
	v_div_scale_f64 v[15:16], s[22:23], v[19:20], v[19:20], v[23:24]
	v_rcp_f64_e32 v[34:35], v[15:16]
	v_fma_f64 v[46:47], -v[15:16], v[34:35], 1.0
	v_fma_f64 v[34:35], v[34:35], v[46:47], v[34:35]
	v_fma_f64 v[46:47], -v[15:16], v[34:35], 1.0
	v_fma_f64 v[34:35], v[34:35], v[46:47], v[34:35]
	v_div_scale_f64 v[46:47], vcc, v[23:24], v[19:20], v[23:24]
	v_mul_f64 v[48:49], v[46:47], v[34:35]
	v_fma_f64 v[15:16], -v[15:16], v[48:49], v[46:47]
	s_nop 1
	v_div_fmas_f64 v[34:35], v[15:16], v[34:35], v[48:49]
	global_load_dwordx4 v[46:49], v[17:18], off offset:64
	v_cmp_eq_u32_e32 vcc, s30, v25
	global_load_dwordx4 v[15:18], v[17:18], off offset:80
	s_or_b64 s[16:17], vcc, s[16:17]
	v_div_fixup_f64 v[19:20], v[34:35], v[19:20], v[23:24]
	v_fma_f64 v[21:22], -v[19:20], v[36:37], v[21:22]
	v_fma_f64 v[11:12], v[13:14], v[21:22], v[11:12]
	s_waitcnt vmcnt(1)
	v_add_f64 v[23:24], v[46:47], -v[38:39]
	v_add_f64 v[34:35], v[48:49], -v[40:41]
	s_waitcnt vmcnt(0)
	v_add_f64 v[38:39], v[15:16], -v[42:43]
	v_add_f64 v[40:41], v[17:18], -v[44:45]
	v_fma_f64 v[23:24], -v[19:20], v[23:24], v[46:47]
	v_fma_f64 v[34:35], -v[19:20], v[34:35], v[48:49]
	;; [unrolled: 1-line block ×4, first 2 shown]
	v_fma_f64 v[9:10], v[13:14], v[23:24], v[9:10]
	v_fma_f64 v[7:8], v[13:14], v[34:35], v[7:8]
	;; [unrolled: 1-line block ×4, first 2 shown]
	s_andn2_b64 exec, exec, s[16:17]
	s_cbranch_execz .LBB0_74
.LBB0_42:                               ; =>This Loop Header: Depth=1
                                        ;     Child Loop BB0_46 Depth 2
                                        ;     Child Loop BB0_64 Depth 2
	v_add_u32_e32 v13, s30, v26
	v_ashrrev_i32_e32 v14, 31, v13
	v_lshlrev_b64 v[15:16], 2, v[13:14]
	v_lshlrev_b64 v[13:14], 3, v[13:14]
	v_add_co_u32_e32 v15, vcc, s12, v15
	v_addc_co_u32_e32 v16, vcc, v31, v16, vcc
	v_add_co_u32_e32 v13, vcc, s10, v13
	global_load_dword v15, v[15:16], off
	v_addc_co_u32_e32 v14, vcc, v32, v14, vcc
	global_load_dwordx2 v[13:14], v[13:14], off
	s_mov_b64 s[26:27], -1
	s_mov_b64 s[22:23], 0
	s_cmp_lt_i32 s20, 1
	s_mov_b64 s[24:25], 0
                                        ; implicit-def: $vgpr17_vgpr18
	s_waitcnt vmcnt(1)
	v_ashrrev_i32_e32 v16, 31, v15
	s_cbranch_scc1 .LBB0_50
; %bb.43:                               ;   in Loop: Header=BB0_42 Depth=1
	s_cmp_eq_u32 s20, 1
	s_mov_b64 s[24:25], -1
                                        ; implicit-def: $vgpr17_vgpr18
	s_cbranch_scc0 .LBB0_56
; %bb.44:                               ;   in Loop: Header=BB0_42 Depth=1
	v_mad_u64_u32 v[17:18], s[24:25], s18, v15, 0
	v_mul_lo_u32 v21, s19, v15
	v_mul_lo_u32 v22, s18, v16
	v_mad_u64_u32 v[19:20], s[24:25], v17, 48, s[2:3]
	s_andn2_b64 vcc, exec, s[14:15]
	v_add3_u32 v18, v18, v22, v21
	v_mov_b32_e32 v17, v20
	v_mad_u64_u32 v[17:18], s[24:25], v18, 48, v[17:18]
	v_mov_b32_e32 v21, 0
	v_mov_b32_e32 v22, 0
	;; [unrolled: 1-line block ×3, first 2 shown]
	s_cbranch_vccnz .LBB0_48
; %bb.45:                               ;   in Loop: Header=BB0_42 Depth=1
	v_mov_b32_e32 v24, s9
	v_mov_b32_e32 v21, 0
	;; [unrolled: 1-line block ×3, first 2 shown]
	s_mov_b64 s[24:25], 0
	v_mov_b32_e32 v23, s8
	v_mov_b32_e32 v22, 0
	;; [unrolled: 1-line block ×3, first 2 shown]
.LBB0_46:                               ;   Parent Loop BB0_42 Depth=1
                                        ; =>  This Inner Loop Header: Depth=2
	v_lshrrev_b64 v[23:24], 1, v[23:24]
	v_add_co_u32_e32 v36, vcc, v23, v21
	v_addc_co_u32_e32 v37, vcc, v24, v22, vcc
	v_mad_u64_u32 v[23:24], s[26:27], v36, 48, v[19:20]
	v_mad_u64_u32 v[34:35], s[26:27], v37, 48, v[24:25]
	v_mov_b32_e32 v24, v34
	global_load_dwordx2 v[23:24], v[23:24], off
	s_waitcnt vmcnt(0)
	v_cmp_gt_f64_e32 vcc, v[23:24], v[1:2]
	v_cndmask_b32_e32 v17, v17, v36, vcc
	v_cndmask_b32_e32 v21, v36, v21, vcc
	;; [unrolled: 1-line block ×4, first 2 shown]
	v_sub_co_u32_e32 v23, vcc, v17, v21
	v_subb_co_u32_e32 v24, vcc, v18, v22, vcc
	v_cmp_gt_i64_e32 vcc, 2, v[23:24]
	s_or_b64 s[24:25], vcc, s[24:25]
	s_andn2_b64 exec, exec, s[24:25]
	s_cbranch_execnz .LBB0_46
; %bb.47:                               ;   in Loop: Header=BB0_42 Depth=1
	s_or_b64 exec, exec, s[24:25]
.LBB0_48:                               ;   in Loop: Header=BB0_42 Depth=1
	v_cmp_ne_u64_e32 vcc, s[8:9], v[21:22]
                                        ; implicit-def: $vgpr17_vgpr18
	s_and_saveexec_b64 s[24:25], vcc
	s_xor_b64 s[24:25], exec, s[24:25]
	s_cbranch_execz .LBB0_53
; %bb.49:                               ;   in Loop: Header=BB0_42 Depth=1
	v_mad_u64_u32 v[17:18], s[26:27], v21, 48, v[19:20]
	v_mad_u64_u32 v[18:19], s[26:27], v22, 48, v[18:19]
                                        ; implicit-def: $vgpr19_vgpr20
	s_andn2_saveexec_b64 s[24:25], s[24:25]
	s_cbranch_execnz .LBB0_54
	s_branch .LBB0_55
.LBB0_50:                               ;   in Loop: Header=BB0_42 Depth=1
	s_and_b64 vcc, exec, s[26:27]
	s_cbranch_vccz .LBB0_57
; %bb.51:                               ;   in Loop: Header=BB0_42 Depth=1
	s_cmp_lg_u32 s20, 0
	s_mov_b64 s[22:23], -1
	s_cselect_b64 s[24:25], -1, 0
	v_lshlrev_b64 v[19:20], 2, v[15:16]
	s_andn2_b64 vcc, exec, s[24:25]
	s_cbranch_vccz .LBB0_58
.LBB0_52:                               ;   in Loop: Header=BB0_42 Depth=1
	s_and_b64 vcc, exec, s[22:23]
	s_cbranch_vccz .LBB0_41
	s_branch .LBB0_73
.LBB0_53:                               ;   in Loop: Header=BB0_42 Depth=1
	s_andn2_saveexec_b64 s[24:25], s[24:25]
	s_cbranch_execz .LBB0_55
.LBB0_54:                               ;   in Loop: Header=BB0_42 Depth=1
	v_mad_u64_u32 v[17:18], s[26:27], s18, 48, v[19:20]
	v_mad_u64_u32 v[18:19], s[26:27], s19, 48, v[18:19]
	v_add_co_u32_e32 v17, vcc, 0xffffffa0, v17
	v_addc_co_u32_e32 v18, vcc, -1, v18, vcc
.LBB0_55:                               ;   in Loop: Header=BB0_42 Depth=1
	s_or_b64 exec, exec, s[24:25]
	s_mov_b64 s[24:25], 0
.LBB0_56:                               ;   in Loop: Header=BB0_42 Depth=1
.LBB0_57:                               ;   in Loop: Header=BB0_42 Depth=1
	v_lshlrev_b64 v[19:20], 2, v[15:16]
	s_andn2_b64 vcc, exec, s[24:25]
	s_cbranch_vccnz .LBB0_52
.LBB0_58:                               ;   in Loop: Header=BB0_42 Depth=1
	v_add_co_u32_e32 v17, vcc, v27, v19
	v_addc_co_u32_e32 v18, vcc, v28, v20, vcc
	global_load_dword v17, v[17:18], off
	v_mov_b32_e32 v34, s21
	s_and_saveexec_b64 s[22:23], s[0:1]
	s_cbranch_execz .LBB0_60
; %bb.59:                               ;   in Loop: Header=BB0_42 Depth=1
	v_add_co_u32_e32 v21, vcc, v29, v19
	v_addc_co_u32_e32 v22, vcc, v30, v20, vcc
	global_load_dword v18, v[21:22], off
	s_waitcnt vmcnt(0)
	v_add_u32_e32 v34, 1, v18
.LBB0_60:                               ;   in Loop: Header=BB0_42 Depth=1
	s_or_b64 exec, exec, s[22:23]
	v_mad_u64_u32 v[22:23], s[22:23], s18, v15, 0
	v_mul_lo_u32 v18, s19, v15
	v_mul_lo_u32 v24, s18, v16
	v_mad_u64_u32 v[21:22], s[22:23], v22, 48, s[2:3]
	v_add3_u32 v23, v23, v24, v18
	v_mov_b32_e32 v18, v22
	v_mad_u64_u32 v[22:23], s[22:23], v23, 48, v[18:19]
	s_waitcnt vmcnt(0)
	v_mad_i64_i32 v[23:24], s[22:23], v17, 48, v[21:22]
	global_load_dwordx2 v[23:24], v[23:24], off
	s_waitcnt vmcnt(0)
	v_cmp_nle_f64_e32 vcc, v[1:2], v[23:24]
	v_mov_b32_e32 v23, 0
	v_mov_b32_e32 v24, 0
	s_and_saveexec_b64 s[22:23], vcc
	s_cbranch_execz .LBB0_68
; %bb.61:                               ;   in Loop: Header=BB0_42 Depth=1
	v_mad_i64_i32 v[23:24], s[24:25], v34, 48, v[21:22]
	global_load_dwordx2 v[23:24], v[23:24], off
	s_waitcnt vmcnt(0)
	v_cmp_nge_f64_e32 vcc, v[1:2], v[23:24]
	v_mov_b32_e32 v24, s9
	v_mov_b32_e32 v23, s8
	s_and_saveexec_b64 s[24:25], vcc
	s_cbranch_execz .LBB0_67
; %bb.62:                               ;   in Loop: Header=BB0_42 Depth=1
	v_ashrrev_i32_e32 v18, 31, v17
	v_ashrrev_i32_e32 v35, 31, v34
	v_sub_co_u32_e32 v23, vcc, v34, v17
	v_subb_co_u32_e32 v24, vcc, v35, v18, vcc
	v_cmp_lt_i64_e32 vcc, 1, v[23:24]
	s_and_saveexec_b64 s[26:27], vcc
	s_cbranch_execz .LBB0_66
; %bb.63:                               ;   in Loop: Header=BB0_42 Depth=1
	s_mov_b64 s[28:29], 0
.LBB0_64:                               ;   Parent Loop BB0_42 Depth=1
                                        ; =>  This Inner Loop Header: Depth=2
	v_lshrrev_b64 v[23:24], 1, v[23:24]
	v_add_co_u32_e32 v38, vcc, v23, v17
	v_addc_co_u32_e32 v39, vcc, v24, v18, vcc
	v_mad_u64_u32 v[23:24], s[34:35], v38, 48, v[21:22]
	v_mad_u64_u32 v[36:37], s[34:35], v39, 48, v[24:25]
	v_mov_b32_e32 v24, v36
	global_load_dwordx2 v[23:24], v[23:24], off
	s_waitcnt vmcnt(0)
	v_cmp_gt_f64_e32 vcc, v[23:24], v[1:2]
	v_cndmask_b32_e32 v34, v34, v38, vcc
	v_cndmask_b32_e32 v17, v38, v17, vcc
	;; [unrolled: 1-line block ×4, first 2 shown]
	v_sub_co_u32_e32 v23, vcc, v34, v17
	v_subb_co_u32_e32 v24, vcc, v35, v18, vcc
	v_cmp_gt_i64_e32 vcc, 2, v[23:24]
	s_or_b64 s[28:29], vcc, s[28:29]
	s_andn2_b64 exec, exec, s[28:29]
	s_cbranch_execnz .LBB0_64
; %bb.65:                               ;   in Loop: Header=BB0_42 Depth=1
	s_or_b64 exec, exec, s[28:29]
.LBB0_66:                               ;   in Loop: Header=BB0_42 Depth=1
	s_or_b64 exec, exec, s[26:27]
	v_mov_b32_e32 v24, v18
	v_mov_b32_e32 v23, v17
.LBB0_67:                               ;   in Loop: Header=BB0_42 Depth=1
	s_or_b64 exec, exec, s[24:25]
.LBB0_68:                               ;   in Loop: Header=BB0_42 Depth=1
	s_or_b64 exec, exec, s[22:23]
	v_ashrrev_i32_e32 v24, 31, v23
	v_cmp_ne_u64_e32 vcc, s[8:9], v[23:24]
                                        ; implicit-def: $vgpr17_vgpr18
	s_and_saveexec_b64 s[22:23], vcc
	s_xor_b64 s[22:23], exec, s[22:23]
; %bb.69:                               ;   in Loop: Header=BB0_42 Depth=1
	v_mad_i64_i32 v[17:18], s[24:25], v23, 48, v[21:22]
                                        ; implicit-def: $vgpr21_vgpr22
; %bb.70:                               ;   in Loop: Header=BB0_42 Depth=1
	s_andn2_saveexec_b64 s[22:23], s[22:23]
	s_cbranch_execz .LBB0_72
; %bb.71:                               ;   in Loop: Header=BB0_42 Depth=1
	v_mad_u64_u32 v[17:18], s[24:25], s18, 48, v[21:22]
	v_mad_u64_u32 v[21:22], s[24:25], s19, 48, v[18:19]
	v_add_co_u32_e32 v17, vcc, 0xffffffa0, v17
	v_addc_co_u32_e32 v18, vcc, -1, v21, vcc
.LBB0_72:                               ;   in Loop: Header=BB0_42 Depth=1
	s_or_b64 exec, exec, s[22:23]
	s_branch .LBB0_41
.LBB0_73:                               ;   in Loop: Header=BB0_42 Depth=1
	v_add_co_u32_e32 v17, vcc, v27, v19
	v_addc_co_u32_e32 v18, vcc, v28, v20, vcc
	global_load_dword v17, v[17:18], off
	v_mad_u64_u32 v[18:19], s[22:23], s18, v15, 0
	v_mul_lo_u32 v20, s19, v15
	v_mul_lo_u32 v21, s18, v16
	v_mad_u64_u32 v[15:16], s[22:23], v18, 48, s[2:3]
	v_add3_u32 v18, v19, v21, v20
	s_waitcnt vmcnt(0)
	v_mad_u64_u32 v[18:19], s[22:23], v18, 48, v[16:17]
	v_mov_b32_e32 v16, v18
	v_ashrrev_i32_e32 v18, 31, v17
	v_mad_i64_i32 v[15:16], s[22:23], v17, 48, v[15:16]
	v_cmp_eq_u64_e32 vcc, s[8:9], v[17:18]
	v_cndmask_b32_e32 v17, 0, v33, vcc
	v_cndmask_b32_e64 v18, 0, -1, vcc
	v_add_co_u32_e32 v17, vcc, v15, v17
	v_addc_co_u32_e32 v18, vcc, v16, v18, vcc
	s_branch .LBB0_41
.LBB0_74:
	s_or_b64 exec, exec, s[16:17]
.LBB0_75:
	s_or_b64 exec, exec, s[4:5]
	v_max_f64 v[1:2], v[11:12], v[11:12]
	v_mov_b32_e32 v11, s7
	v_max_f64 v[1:2], v[1:2], -1.0
	v_cmp_gt_f64_e32 vcc, v[9:10], v[1:2]
	v_cndmask_b32_e32 v2, v2, v10, vcc
	v_cndmask_b32_e32 v1, v1, v9, vcc
	v_cmp_gt_f64_e64 s[0:1], v[7:8], v[1:2]
	v_cndmask_b32_e64 v8, v2, v8, s[0:1]
	v_cndmask_b32_e64 v7, v1, v7, s[0:1]
	v_cmp_gt_f64_e64 s[2:3], v[5:6], v[7:8]
	v_ashrrev_i32_e32 v1, 31, v0
	v_lshlrev_b64 v[9:10], 3, v[0:1]
	v_cndmask_b32_e64 v0, 1, 2, vcc
	v_cndmask_b32_e64 v12, v0, 3, s[0:1]
	v_mov_b32_e32 v2, 0
	v_cndmask_b32_e64 v1, v8, v6, s[2:3]
	v_cndmask_b32_e64 v0, v7, v5, s[2:3]
	v_cmp_ngt_f64_e32 vcc, v[3:4], v[0:1]
	v_cndmask_b32_e64 v5, v12, 4, s[2:3]
	v_cndmask_b32_e32 v1, 5, v5, vcc
	v_add_co_u32_e32 v3, vcc, s6, v9
	v_addc_co_u32_e32 v4, vcc, v11, v10, vcc
	global_store_dwordx2 v[3:4], v[1:2], off
.LBB0_76:
	s_endpgm
	.section	.rodata,"a",@progbits
	.p2align	6, 0x0
	.amdhsa_kernel _Z25xs_lookup_kernel_baseline6Inputs14SimulationData
		.amdhsa_group_segment_fixed_size 0
		.amdhsa_private_segment_fixed_size 0
		.amdhsa_kernarg_size 448
		.amdhsa_user_sgpr_count 6
		.amdhsa_user_sgpr_private_segment_buffer 1
		.amdhsa_user_sgpr_dispatch_ptr 0
		.amdhsa_user_sgpr_queue_ptr 0
		.amdhsa_user_sgpr_kernarg_segment_ptr 1
		.amdhsa_user_sgpr_dispatch_id 0
		.amdhsa_user_sgpr_flat_scratch_init 0
		.amdhsa_user_sgpr_private_segment_size 0
		.amdhsa_uses_dynamic_stack 0
		.amdhsa_system_sgpr_private_segment_wavefront_offset 0
		.amdhsa_system_sgpr_workgroup_id_x 1
		.amdhsa_system_sgpr_workgroup_id_y 0
		.amdhsa_system_sgpr_workgroup_id_z 0
		.amdhsa_system_sgpr_workgroup_info 0
		.amdhsa_system_vgpr_workitem_id 0
		.amdhsa_next_free_vgpr 50
		.amdhsa_next_free_sgpr 44
		.amdhsa_reserve_vcc 1
		.amdhsa_reserve_flat_scratch 0
		.amdhsa_float_round_mode_32 0
		.amdhsa_float_round_mode_16_64 0
		.amdhsa_float_denorm_mode_32 3
		.amdhsa_float_denorm_mode_16_64 3
		.amdhsa_dx10_clamp 1
		.amdhsa_ieee_mode 1
		.amdhsa_fp16_overflow 0
		.amdhsa_exception_fp_ieee_invalid_op 0
		.amdhsa_exception_fp_denorm_src 0
		.amdhsa_exception_fp_ieee_div_zero 0
		.amdhsa_exception_fp_ieee_overflow 0
		.amdhsa_exception_fp_ieee_underflow 0
		.amdhsa_exception_fp_ieee_inexact 0
		.amdhsa_exception_int_div_zero 0
	.end_amdhsa_kernel
	.text
.Lfunc_end0:
	.size	_Z25xs_lookup_kernel_baseline6Inputs14SimulationData, .Lfunc_end0-_Z25xs_lookup_kernel_baseline6Inputs14SimulationData
                                        ; -- End function
	.set _Z25xs_lookup_kernel_baseline6Inputs14SimulationData.num_vgpr, 50
	.set _Z25xs_lookup_kernel_baseline6Inputs14SimulationData.num_agpr, 0
	.set _Z25xs_lookup_kernel_baseline6Inputs14SimulationData.numbered_sgpr, 44
	.set _Z25xs_lookup_kernel_baseline6Inputs14SimulationData.num_named_barrier, 0
	.set _Z25xs_lookup_kernel_baseline6Inputs14SimulationData.private_seg_size, 0
	.set _Z25xs_lookup_kernel_baseline6Inputs14SimulationData.uses_vcc, 1
	.set _Z25xs_lookup_kernel_baseline6Inputs14SimulationData.uses_flat_scratch, 0
	.set _Z25xs_lookup_kernel_baseline6Inputs14SimulationData.has_dyn_sized_stack, 0
	.set _Z25xs_lookup_kernel_baseline6Inputs14SimulationData.has_recursion, 0
	.set _Z25xs_lookup_kernel_baseline6Inputs14SimulationData.has_indirect_call, 0
	.section	.AMDGPU.csdata,"",@progbits
; Kernel info:
; codeLenInByte = 3100
; TotalNumSgprs: 48
; NumVgprs: 50
; ScratchSize: 0
; MemoryBound: 0
; FloatMode: 240
; IeeeMode: 1
; LDSByteSize: 0 bytes/workgroup (compile time only)
; SGPRBlocks: 5
; VGPRBlocks: 12
; NumSGPRsForWavesPerEU: 48
; NumVGPRsForWavesPerEU: 50
; Occupancy: 4
; WaveLimiterHint : 1
; COMPUTE_PGM_RSRC2:SCRATCH_EN: 0
; COMPUTE_PGM_RSRC2:USER_SGPR: 6
; COMPUTE_PGM_RSRC2:TRAP_HANDLER: 0
; COMPUTE_PGM_RSRC2:TGID_X_EN: 1
; COMPUTE_PGM_RSRC2:TGID_Y_EN: 0
; COMPUTE_PGM_RSRC2:TGID_Z_EN: 0
; COMPUTE_PGM_RSRC2:TIDIG_COMP_CNT: 0
	.section	.AMDGPU.gpr_maximums,"",@progbits
	.set amdgpu.max_num_vgpr, 0
	.set amdgpu.max_num_agpr, 0
	.set amdgpu.max_num_sgpr, 0
	.section	.AMDGPU.csdata,"",@progbits
	.type	__hip_cuid_78d2198bb27607db,@object ; @__hip_cuid_78d2198bb27607db
	.section	.bss,"aw",@nobits
	.globl	__hip_cuid_78d2198bb27607db
__hip_cuid_78d2198bb27607db:
	.byte	0                               ; 0x0
	.size	__hip_cuid_78d2198bb27607db, 1

	.ident	"AMD clang version 22.0.0git (https://github.com/RadeonOpenCompute/llvm-project roc-7.2.4 26084 f58b06dce1f9c15707c5f808fd002e18c2accf7e)"
	.section	".note.GNU-stack","",@progbits
	.addrsig
	.addrsig_sym __hip_cuid_78d2198bb27607db
	.amdgpu_metadata
---
amdhsa.kernels:
  - .args:
      - .offset:         0
        .size:           64
        .value_kind:     by_value
      - .offset:         64
        .size:           128
        .value_kind:     by_value
      - .offset:         192
        .size:           4
        .value_kind:     hidden_block_count_x
      - .offset:         196
        .size:           4
        .value_kind:     hidden_block_count_y
      - .offset:         200
        .size:           4
        .value_kind:     hidden_block_count_z
      - .offset:         204
        .size:           2
        .value_kind:     hidden_group_size_x
      - .offset:         206
        .size:           2
        .value_kind:     hidden_group_size_y
      - .offset:         208
        .size:           2
        .value_kind:     hidden_group_size_z
      - .offset:         210
        .size:           2
        .value_kind:     hidden_remainder_x
      - .offset:         212
        .size:           2
        .value_kind:     hidden_remainder_y
      - .offset:         214
        .size:           2
        .value_kind:     hidden_remainder_z
      - .offset:         232
        .size:           8
        .value_kind:     hidden_global_offset_x
      - .offset:         240
        .size:           8
        .value_kind:     hidden_global_offset_y
      - .offset:         248
        .size:           8
        .value_kind:     hidden_global_offset_z
      - .offset:         256
        .size:           2
        .value_kind:     hidden_grid_dims
    .group_segment_fixed_size: 0
    .kernarg_segment_align: 8
    .kernarg_segment_size: 448
    .language:       OpenCL C
    .language_version:
      - 2
      - 0
    .max_flat_workgroup_size: 1024
    .name:           _Z25xs_lookup_kernel_baseline6Inputs14SimulationData
    .private_segment_fixed_size: 0
    .sgpr_count:     48
    .sgpr_spill_count: 0
    .symbol:         _Z25xs_lookup_kernel_baseline6Inputs14SimulationData.kd
    .uniform_work_group_size: 1
    .uses_dynamic_stack: false
    .vgpr_count:     50
    .vgpr_spill_count: 0
    .wavefront_size: 64
amdhsa.target:   amdgcn-amd-amdhsa--gfx906
amdhsa.version:
  - 1
  - 2
...

	.end_amdgpu_metadata
